;; amdgpu-corpus repo=ROCm/rocFFT kind=compiled arch=gfx950 opt=O3
	.text
	.amdgcn_target "amdgcn-amd-amdhsa--gfx950"
	.amdhsa_code_object_version 6
	.protected	bluestein_single_back_len144_dim1_sp_op_CI_CI ; -- Begin function bluestein_single_back_len144_dim1_sp_op_CI_CI
	.globl	bluestein_single_back_len144_dim1_sp_op_CI_CI
	.p2align	8
	.type	bluestein_single_back_len144_dim1_sp_op_CI_CI,@function
bluestein_single_back_len144_dim1_sp_op_CI_CI: ; @bluestein_single_back_len144_dim1_sp_op_CI_CI
; %bb.0:
	s_load_dwordx4 s[12:15], s[0:1], 0x28
	v_mul_u32_u24_e32 v1, 0x1556, v0
	v_lshrrev_b32_e32 v2, 16, v1
	v_mad_u64_u32 v[54:55], s[2:3], s2, 10, v[2:3]
	v_mov_b32_e32 v55, 0
	s_waitcnt lgkmcnt(0)
	v_cmp_gt_u64_e32 vcc, s[12:13], v[54:55]
	s_and_saveexec_b64 s[2:3], vcc
	s_cbranch_execz .LBB0_2
; %bb.1:
	s_load_dwordx4 s[4:7], s[0:1], 0x18
	s_load_dwordx4 s[8:11], s[0:1], 0x0
	v_mov_b32_e32 v4, s14
	v_mov_b32_e32 v5, s15
	v_mul_lo_u16_e32 v1, 12, v2
	s_waitcnt lgkmcnt(0)
	s_load_dwordx4 s[12:15], s[4:5], 0x0
	v_sub_u16_e32 v28, v0, v1
	v_or_b32_e32 v69, 48, v28
	v_or_b32_e32 v61, 0x60, v28
	v_mov_b32_e32 v55, 0xc0
	s_waitcnt lgkmcnt(0)
	v_mad_u64_u32 v[0:1], s[2:3], s14, v54, 0
	v_mov_b32_e32 v2, v1
	v_mad_u64_u32 v[2:3], s[2:3], s15, v54, v[2:3]
	v_mov_b32_e32 v1, v2
	v_mad_u64_u32 v[2:3], s[2:3], s12, v28, 0
	v_mov_b32_e32 v6, v3
	v_mad_u64_u32 v[8:9], s[2:3], s12, v69, 0
	v_mad_u64_u32 v[6:7], s[2:3], s13, v28, v[6:7]
	v_mov_b32_e32 v10, v9
	v_mov_b32_e32 v3, v6
	v_lshl_add_u64 v[0:1], v[0:1], 3, v[4:5]
	v_mad_u64_u32 v[10:11], s[2:3], s13, v69, v[10:11]
	v_lshl_add_u64 v[2:3], v[2:3], 3, v[0:1]
	v_mov_b32_e32 v9, v10
	v_mad_u64_u32 v[10:11], s[2:3], s12, v61, 0
	global_load_dwordx2 v[4:5], v[2:3], off
	v_lshlrev_b32_e32 v79, 3, v28
	v_mad_u64_u32 v[2:3], s[2:3], s12, v55, v[2:3]
	s_mul_i32 s4, s13, 0xc0
	v_mov_b32_e32 v12, v11
	global_load_dwordx2 v[30:31], v79, s[8:9]
	v_add_u32_e32 v3, s4, v3
	v_mov_b32_e32 v59, 0x180
	v_mad_u64_u32 v[12:13], s[2:3], s13, v61, v[12:13]
	global_load_dwordx2 v[6:7], v[2:3], off
	global_load_dwordx2 v[32:33], v79, s[8:9] offset:192
	v_mad_u64_u32 v[2:3], s[2:3], s12, v59, v[2:3]
	s_mul_i32 s5, s13, 0x180
	v_mov_b32_e32 v11, v12
	v_lshl_add_u64 v[8:9], v[8:9], 3, v[0:1]
	v_add_u32_e32 v3, s5, v3
	v_lshl_add_u64 v[0:1], v[10:11], 3, v[0:1]
	global_load_dwordx2 v[36:37], v79, s[8:9] offset:384
	global_load_dwordx2 v[34:35], v79, s[8:9] offset:576
	global_load_dwordx2 v[10:11], v[8:9], off
	global_load_dwordx2 v[12:13], v[0:1], off
	global_load_dwordx2 v[38:39], v79, s[8:9] offset:768
	v_mad_u64_u32 v[0:1], s[2:3], s12, v59, v[2:3]
	global_load_dwordx2 v[2:3], v[2:3], off
	v_add_u32_e32 v1, s5, v1
	v_mov_b32_e32 v71, 0xfffffca0
	v_mad_u64_u32 v[8:9], s[2:3], s12, v71, v[0:1]
	global_load_dwordx2 v[0:1], v[0:1], off
	s_add_u32 s16, s8, 0x480
	s_mul_i32 s2, s13, 0xfffffca0
	s_addc_u32 s17, s9, 0
	global_load_dwordx2 v[40:41], v79, s[8:9] offset:960
	s_sub_i32 s2, s2, s12
	v_add_u32_e32 v9, s2, v9
	global_load_dwordx2 v[14:15], v[8:9], off
	global_load_dwordx2 v[42:43], v79, s[8:9] offset:288
	global_load_dwordx2 v[48:49], v79, s[8:9] offset:96
	v_mad_u64_u32 v[8:9], s[2:3], s12, v55, v[8:9]
	v_add_u32_e32 v9, s4, v9
	global_load_dwordx2 v[18:19], v[8:9], off
	v_mad_u64_u32 v[8:9], s[2:3], s12, v55, v[8:9]
	v_add_u32_e32 v9, s4, v9
	global_load_dwordx2 v[20:21], v[8:9], off
	global_load_dwordx2 v[44:45], v79, s[8:9] offset:672
	global_load_dwordx2 v[50:51], v79, s[8:9] offset:480
	v_mad_u64_u32 v[8:9], s[2:3], s12, v55, v[8:9]
	v_add_u32_e32 v9, s4, v9
	global_load_dwordx2 v[22:23], v[8:9], off
	v_mad_u64_u32 v[8:9], s[2:3], s12, v55, v[8:9]
	v_add_u32_e32 v9, s4, v9
	global_load_dwordx2 v[24:25], v[8:9], off
	global_load_dwordx2 v[46:47], v79, s[8:9] offset:1056
	global_load_dwordx2 v[52:53], v79, s[8:9] offset:864
	v_mad_u64_u32 v[8:9], s[2:3], s12, v55, v[8:9]
	v_add_u32_e32 v9, s4, v9
	global_load_dwordx2 v[8:9], v[8:9], off
	s_mov_b32 s2, 0xcccccccd
	v_mul_hi_u32 v16, v54, s2
	v_lshrrev_b32_e32 v16, 3, v16
	v_mul_lo_u32 v16, v16, 10
	v_sub_u32_e32 v16, v54, v16
	v_mul_u32_u24_e32 v16, 0x90, v16
	v_or_b32_e32 v17, v16, v28
	v_lshlrev_b32_e32 v77, 3, v17
	v_lshl_add_u32 v75, v16, 3, v79
	s_load_dwordx4 s[4:7], s[6:7], 0x0
	s_mov_b32 s14, 0x3f5db3d7
	s_mov_b32 s15, 0xbf5db3d7
	s_mov_b32 s12, 0.5
	s_mov_b32 s13, s14
	s_mov_b32 s2, s14
	s_mov_b32 s3, s12
	s_mov_b32 s18, 0
	v_mov_b32_e32 v29, s18
	v_cmp_gt_u16_e32 vcc, 6, v28
	s_movk_i32 s18, 0xab
	s_load_dwordx2 s[0:1], s[0:1], 0x38
	s_waitcnt vmcnt(22)
	v_mul_f32_e32 v26, v5, v31
	v_fmac_f32_e32 v26, v4, v30
	v_mul_f32_e32 v4, v4, v31
	v_fma_f32 v27, v5, v30, -v4
	ds_write_b64 v77, v[26:27]
	s_waitcnt vmcnt(20)
	v_mul_f32_e32 v4, v7, v33
	v_fmac_f32_e32 v4, v6, v32
	v_mul_f32_e32 v5, v6, v33
	v_fma_f32 v5, v7, v32, -v5
	s_waitcnt vmcnt(17)
	v_mul_f32_e32 v6, v11, v37
	v_fmac_f32_e32 v6, v10, v36
	v_mul_f32_e32 v7, v10, v37
	v_fma_f32 v7, v11, v36, -v7
	;; [unrolled: 5-line block ×3, first 2 shown]
	v_mul_f32_e32 v2, v13, v39
	v_fmac_f32_e32 v2, v12, v38
	v_mul_f32_e32 v3, v12, v39
	v_fma_f32 v3, v13, v38, -v3
	s_waitcnt vmcnt(12)
	v_mul_f32_e32 v12, v1, v41
	v_fmac_f32_e32 v12, v0, v40
	v_mul_f32_e32 v0, v0, v41
	v_fma_f32 v13, v1, v40, -v0
	s_waitcnt vmcnt(9)
	v_mul_f32_e32 v0, v15, v49
	v_mul_f32_e32 v1, v14, v49
	v_fmac_f32_e32 v0, v14, v48
	v_fma_f32 v1, v15, v48, -v1
	ds_write2_b64 v75, v[0:1], v[4:5] offset0:12 offset1:24
	s_waitcnt vmcnt(8)
	v_mul_f32_e32 v0, v19, v43
	v_mul_f32_e32 v1, v18, v43
	v_fmac_f32_e32 v0, v18, v42
	v_fma_f32 v1, v19, v42, -v1
	ds_write2_b64 v75, v[0:1], v[6:7] offset0:36 offset1:48
	;; [unrolled: 6-line block ×5, first 2 shown]
	s_waitcnt vmcnt(0)
	v_mul_f32_e32 v0, v9, v47
	v_mul_f32_e32 v1, v8, v47
	v_fmac_f32_e32 v0, v8, v46
	v_fma_f32 v1, v9, v46, -v1
	ds_write_b64 v75, v[0:1] offset:1056
	s_waitcnt lgkmcnt(0)
	s_barrier
	ds_read2_b64 v[0:3], v75 offset0:12 offset1:24
	ds_read2_b64 v[4:7], v75 offset0:60 offset1:72
	ds_read2_b64 v[8:11], v75 offset0:108 offset1:120
	ds_read2_b64 v[12:15], v75 offset0:36 offset1:48
	ds_read2_b64 v[18:21], v75 offset0:84 offset1:96
	s_waitcnt lgkmcnt(3)
	v_pk_add_f32 v[22:23], v[0:1], v[4:5]
	s_waitcnt lgkmcnt(2)
	v_pk_add_f32 v[56:57], v[4:5], v[8:9]
	v_pk_add_f32 v[62:63], v[4:5], v[8:9] neg_lo:[0,1] neg_hi:[0,1]
	ds_read_b64 v[4:5], v77
	v_pk_add_f32 v[26:27], v[6:7], v[10:11]
	v_pk_add_f32 v[24:25], v[2:3], v[6:7]
	v_pk_add_f32 v[6:7], v[6:7], v[10:11] neg_lo:[0,1] neg_hi:[0,1]
	v_pk_fma_f32 v[2:3], v[26:27], 0.5, v[2:3] op_sel_hi:[1,0,1] neg_lo:[1,0,0] neg_hi:[1,0,0]
	v_pk_add_f32 v[8:9], v[22:23], v[8:9]
	s_waitcnt lgkmcnt(1)
	v_pk_add_f32 v[22:23], v[14:15], v[20:21]
	v_pk_add_f32 v[64:65], v[14:15], v[20:21] neg_lo:[0,1] neg_hi:[0,1]
	v_pk_fma_f32 v[26:27], v[6:7], s[14:15], v[2:3] op_sel:[0,0,1] op_sel_hi:[1,0,0]
	v_pk_add_f32 v[10:11], v[24:25], v[10:11]
	ds_read_b64 v[24:25], v75 offset:1056
	s_waitcnt lgkmcnt(1)
	v_pk_fma_f32 v[22:23], v[22:23], 0.5, v[4:5] op_sel_hi:[1,0,1] neg_lo:[1,0,0] neg_hi:[1,0,0]
	v_pk_mul_f32 v[64:65], v[64:65], s[14:15] op_sel_hi:[1,0]
	v_pk_fma_f32 v[6:7], v[6:7], s[14:15], v[2:3] op_sel:[0,0,1] op_sel_hi:[1,0,0] neg_lo:[1,0,0] neg_hi:[1,0,0]
	v_pk_mul_f32 v[2:3], v[26:27], s[12:13] op_sel:[1,0]
	v_pk_add_f32 v[66:67], v[22:23], v[64:65] op_sel:[0,1] op_sel_hi:[1,0]
	v_pk_add_f32 v[22:23], v[22:23], v[64:65] op_sel:[0,1] op_sel_hi:[1,0] neg_lo:[0,1] neg_hi:[0,1]
	v_pk_fma_f32 v[64:65], v[6:7], s[2:3], v[2:3]
	v_pk_fma_f32 v[2:3], v[6:7], s[2:3], v[2:3] op_sel_hi:[0,1,1] neg_lo:[0,0,1] neg_hi:[0,0,1]
	v_mul_lo_u16_e32 v2, 6, v28
	v_mov_b32_e32 v65, v3
	v_add_lshl_u32 v80, v16, v2, 3
	v_pk_add_f32 v[2:3], v[4:5], v[14:15]
	v_mov_b32_e32 v6, v26
	v_pk_add_f32 v[14:15], v[2:3], v[20:21]
	v_mov_b32_e32 v20, v66
	v_mov_b32_e32 v21, v23
	v_pk_add_f32 v[2:3], v[14:15], v[10:11]
	v_pk_add_f32 v[4:5], v[20:21], v[64:65]
	s_waitcnt lgkmcnt(0)
	s_barrier
	ds_write_b128 v80, v[2:5]
	v_pk_mul_f32 v[2:3], v[6:7], 0.5 op_sel_hi:[1,0]
	v_mov_b32_e32 v23, v67
	v_pk_fma_f32 v[6:7], v[6:7], s[14:15], v[2:3] op_sel:[0,0,1] op_sel_hi:[1,1,0] neg_lo:[0,0,1] neg_hi:[0,0,1]
	v_pk_add_f32 v[4:5], v[14:15], v[10:11] neg_lo:[0,1] neg_hi:[0,1]
	v_pk_add_f32 v[2:3], v[22:23], v[6:7]
	ds_write_b128 v80, v[2:5] offset:16
	v_pk_add_f32 v[2:3], v[20:21], v[64:65] neg_lo:[0,1] neg_hi:[0,1]
	v_pk_add_f32 v[4:5], v[22:23], v[6:7] neg_lo:[0,1] neg_hi:[0,1]
	ds_write_b128 v80, v[2:5] offset:32
	v_pk_fma_f32 v[0:1], v[56:57], 0.5, v[0:1] op_sel_hi:[1,0,1] neg_lo:[1,0,0] neg_hi:[1,0,0]
	v_pk_mul_f32 v[4:5], v[62:63], s[14:15] op_sel_hi:[1,0]
	v_lshl_add_u64 v[10:11], v[28:29], 0, 12
	v_pk_add_f32 v[14:15], v[0:1], v[4:5] op_sel:[0,1] op_sel_hi:[1,0]
	v_pk_add_f32 v[20:21], v[0:1], v[4:5] op_sel:[0,1] op_sel_hi:[1,0] neg_lo:[0,1] neg_hi:[0,1]
	v_pk_add_f32 v[0:1], v[18:19], v[24:25]
	v_mul_u32_u24_e32 v6, 6, v10
	v_pk_fma_f32 v[0:1], v[0:1], 0.5, v[12:13] op_sel_hi:[1,0,1] neg_lo:[1,0,0] neg_hi:[1,0,0]
	v_pk_add_f32 v[4:5], v[18:19], v[24:25] neg_lo:[0,1] neg_hi:[0,1]
	v_add_lshl_u32 v29, v16, v6, 3
	v_pk_add_f32 v[6:7], v[12:13], v[18:19]
	v_pk_fma_f32 v[12:13], v[4:5], s[14:15], v[0:1] op_sel:[0,0,1] op_sel_hi:[1,0,0]
	v_pk_fma_f32 v[0:1], v[4:5], s[14:15], v[0:1] op_sel:[0,0,1] op_sel_hi:[1,0,0] neg_lo:[1,0,0] neg_hi:[1,0,0]
	v_mov_b32_e32 v4, v12
	v_mov_b32_e32 v5, v1
	v_pk_mul_f32 v[18:19], v[4:5], 0.5 op_sel_hi:[1,0]
	v_pk_add_f32 v[6:7], v[6:7], v[24:25]
	v_pk_fma_f32 v[18:19], v[4:5], s[14:15], v[18:19] op_sel:[0,0,1] op_sel_hi:[1,1,0] neg_lo:[0,0,1] neg_hi:[0,0,1]
	v_pk_mul_f32 v[4:5], v[12:13], s[12:13] op_sel:[1,0]
	v_mov_b32_e32 v22, v14
	v_pk_fma_f32 v[12:13], v[0:1], s[2:3], v[4:5]
	v_pk_fma_f32 v[0:1], v[0:1], s[2:3], v[4:5] op_sel_hi:[0,1,1] neg_lo:[0,0,1] neg_hi:[0,0,1]
	v_mov_b32_e32 v23, v21
	v_mov_b32_e32 v13, v1
	v_pk_add_f32 v[2:3], v[8:9], v[6:7]
	v_mov_b32_e32 v21, v15
	v_pk_add_f32 v[4:5], v[22:23], v[12:13]
	v_pk_add_f32 v[0:1], v[20:21], v[18:19]
	ds_write_b128 v29, v[2:5]
	v_pk_add_f32 v[2:3], v[8:9], v[6:7] neg_lo:[0,1] neg_hi:[0,1]
	ds_write_b128 v29, v[0:3] offset:16
	v_pk_add_f32 v[0:1], v[22:23], v[12:13] neg_lo:[0,1] neg_hi:[0,1]
	v_pk_add_f32 v[2:3], v[20:21], v[18:19] neg_lo:[0,1] neg_hi:[0,1]
	ds_write_b128 v29, v[0:3] offset:32
	v_add_u32_e32 v0, -6, v28
	v_cndmask_b32_e32 v17, v0, v28, vcc
	v_mul_lo_u16_sdwa v0, v10, s18 dst_sel:DWORD dst_unused:UNUSED_PAD src0_sel:BYTE_0 src1_sel:DWORD
	v_lshrrev_b16_e32 v74, 10, v0
	v_mul_lo_u16_e32 v0, 6, v74
	v_sub_u16_e32 v76, v10, v0
	v_and_b32_e32 v0, 0xff, v76
	v_mad_u64_u32 v[26:27], s[18:19], v0, 40, s[10:11]
	s_waitcnt lgkmcnt(0)
	s_barrier
	global_load_dwordx4 v[4:7], v[26:27], off
	v_mul_hi_i32_i24_e32 v1, 40, v17
	v_mul_i32_i24_e32 v0, 40, v17
	v_lshl_add_u64 v[18:19], s[10:11], 0, v[0:1]
	global_load_dwordx4 v[0:3], v[18:19], off
	global_load_dwordx4 v[8:11], v[18:19], off offset:16
	global_load_dwordx4 v[12:15], v[26:27], off offset:16
	global_load_dwordx2 v[62:63], v[18:19], off offset:32
	global_load_dwordx2 v[56:57], v[26:27], off offset:32
	ds_read2_b64 v[18:21], v75 offset0:36 offset1:48
	v_cmp_lt_u16_e32 vcc, 5, v28
	s_waitcnt vmcnt(5) lgkmcnt(0)
	v_pk_mul_f32 v[22:23], v[18:19], v[4:5] op_sel:[0,1]
	s_nop 0
	v_pk_fma_f32 v[64:65], v[18:19], v[4:5], v[22:23] op_sel:[0,0,1] op_sel_hi:[1,1,0] neg_lo:[0,0,1] neg_hi:[0,0,1]
	v_pk_fma_f32 v[66:67], v[18:19], v[4:5], v[22:23] op_sel:[0,0,1] op_sel_hi:[1,0,0]
	s_waitcnt vmcnt(4)
	v_mov_b32_e32 v58, v3
	ds_read2_b64 v[22:25], v75 offset0:60 offset1:72
	v_pk_mul_f32 v[18:19], v[20:21], v[58:59] op_sel_hi:[1,0]
	v_mov_b32_e32 v60, v7
	v_pk_fma_f32 v[72:73], v[20:21], v[2:3], v[18:19] op_sel:[0,0,1] op_sel_hi:[1,1,0] neg_lo:[0,0,1] neg_hi:[0,0,1]
	v_pk_fma_f32 v[82:83], v[20:21], v[2:3], v[18:19] op_sel:[0,0,1] op_sel_hi:[1,0,0]
	ds_read2_b64 v[18:21], v75 offset0:84 offset1:96
	s_waitcnt lgkmcnt(1)
	v_pk_mul_f32 v[84:85], v[22:23], v[60:61] op_sel_hi:[1,0]
	s_waitcnt vmcnt(3)
	v_mov_b32_e32 v68, v11
	v_pk_fma_f32 v[26:27], v[22:23], v[6:7], v[84:85] op_sel:[0,0,1] op_sel_hi:[1,1,0] neg_lo:[0,0,1] neg_hi:[0,0,1]
	v_pk_fma_f32 v[84:85], v[22:23], v[6:7], v[84:85] op_sel:[0,0,1] op_sel_hi:[1,0,0]
	v_pk_mul_f32 v[22:23], v[24:25], v[8:9] op_sel:[0,1]
	s_waitcnt vmcnt(2)
	v_mov_b32_e32 v70, v15
	v_pk_fma_f32 v[86:87], v[24:25], v[8:9], v[22:23] op_sel:[0,0,1] op_sel_hi:[1,1,0] neg_lo:[0,0,1] neg_hi:[0,0,1]
	v_pk_fma_f32 v[88:89], v[24:25], v[8:9], v[22:23] op_sel:[0,0,1] op_sel_hi:[1,0,0]
	s_waitcnt lgkmcnt(0)
	v_pk_mul_f32 v[22:23], v[18:19], v[12:13] op_sel:[0,1]
	v_mov_b32_e32 v73, v83
	v_pk_fma_f32 v[90:91], v[18:19], v[12:13], v[22:23] op_sel:[0,0,1] op_sel_hi:[1,1,0] neg_lo:[0,0,1] neg_hi:[0,0,1]
	v_pk_fma_f32 v[92:93], v[18:19], v[12:13], v[22:23] op_sel:[0,0,1] op_sel_hi:[1,0,0]
	ds_read2_b64 v[22:25], v75 offset0:108 offset1:120
	v_pk_mul_f32 v[18:19], v[20:21], v[68:69] op_sel_hi:[1,0]
	ds_read_b64 v[82:83], v75 offset:1056
	v_pk_fma_f32 v[94:95], v[20:21], v[10:11], v[18:19] op_sel:[0,0,1] op_sel_hi:[1,1,0] neg_lo:[0,0,1] neg_hi:[0,0,1]
	v_pk_fma_f32 v[96:97], v[20:21], v[10:11], v[18:19] op_sel:[0,0,1] op_sel_hi:[1,0,0]
	ds_read2_b64 v[18:21], v75 offset0:12 offset1:24
	s_waitcnt lgkmcnt(2)
	v_pk_mul_f32 v[98:99], v[22:23], v[70:71] op_sel_hi:[1,0]
	v_mov_b32_e32 v95, v97
	v_pk_fma_f32 v[100:101], v[22:23], v[14:15], v[98:99] op_sel:[0,0,1] op_sel_hi:[1,1,0] neg_lo:[0,0,1] neg_hi:[0,0,1]
	v_pk_fma_f32 v[22:23], v[22:23], v[14:15], v[98:99] op_sel:[0,0,1] op_sel_hi:[1,0,0]
	s_waitcnt vmcnt(1)
	v_pk_mul_f32 v[98:99], v[24:25], v[62:63] op_sel:[0,1]
	v_mov_b32_e32 v87, v89
	v_pk_fma_f32 v[102:103], v[24:25], v[62:63], v[98:99] op_sel:[0,0,1] op_sel_hi:[1,1,0] neg_lo:[0,0,1] neg_hi:[0,0,1]
	v_pk_fma_f32 v[24:25], v[24:25], v[62:63], v[98:99] op_sel:[0,0,1] op_sel_hi:[1,0,0]
	s_waitcnt lgkmcnt(0)
	v_pk_mul_f32 v[98:99], v[20:21], v[0:1] op_sel:[0,1]
	v_mov_b32_e32 v103, v25
	v_pk_fma_f32 v[104:105], v[20:21], v[0:1], v[98:99] op_sel:[0,0,1] op_sel_hi:[1,1,0] neg_lo:[0,0,1] neg_hi:[0,0,1]
	v_pk_fma_f32 v[20:21], v[20:21], v[0:1], v[98:99] op_sel:[0,0,1] op_sel_hi:[1,0,0]
	v_pk_add_f32 v[24:25], v[72:73], v[94:95]
	v_mov_b32_e32 v105, v21
	ds_read_b64 v[20:21], v77
	v_cndmask_b32_e64 v7, 0, 36, vcc
	v_add_u32_e32 v7, v17, v7
	v_add_lshl_u32 v7, v16, v7, 3
	s_waitcnt lgkmcnt(0)
	v_pk_fma_f32 v[24:25], v[24:25], 0.5, v[20:21] op_sel_hi:[1,0,1] neg_lo:[1,0,0] neg_hi:[1,0,0]
	v_pk_add_f32 v[20:21], v[20:21], v[72:73]
	v_pk_add_f32 v[72:73], v[72:73], v[94:95] neg_lo:[0,1] neg_hi:[0,1]
	v_pk_add_f32 v[20:21], v[20:21], v[94:95]
	v_pk_mul_f32 v[72:73], v[72:73], s[14:15] op_sel_hi:[1,0]
	v_pk_add_f32 v[94:95], v[104:105], v[86:87]
	v_pk_add_f32 v[88:89], v[72:73], v[24:25] op_sel:[1,0] op_sel_hi:[0,1]
	v_pk_add_f32 v[24:25], v[24:25], v[72:73] op_sel:[0,1] op_sel_hi:[1,0] neg_lo:[0,1] neg_hi:[0,1]
	v_pk_add_f32 v[72:73], v[86:87], v[102:103]
	v_pk_add_f32 v[86:87], v[86:87], v[102:103] neg_lo:[0,1] neg_hi:[0,1]
	v_pk_fma_f32 v[72:73], v[72:73], 0.5, v[104:105] op_sel_hi:[1,0,1] neg_lo:[1,0,0] neg_hi:[1,0,0]
	v_pk_add_f32 v[94:95], v[94:95], v[102:103]
	v_pk_fma_f32 v[96:97], v[86:87], s[14:15], v[72:73] op_sel:[0,0,1] op_sel_hi:[1,0,0]
	v_pk_fma_f32 v[72:73], v[86:87], s[14:15], v[72:73] op_sel:[0,0,1] op_sel_hi:[1,0,0] neg_lo:[1,0,0] neg_hi:[1,0,0]
	v_mul_f32_e32 v22, 0xbf5db3d7, v97
	v_mul_f32_e32 v17, 0x3f5db3d7, v72
	v_fmac_f32_e32 v17, 0.5, v97
	v_fmac_f32_e32 v22, 0.5, v72
	v_add_f32_e32 v86, v88, v17
	v_add_f32_e32 v87, v25, v22
	v_pk_add_f32 v[98:99], v[20:21], v[94:95]
	v_mov_b32_e32 v72, v96
	s_barrier
	ds_write2_b64 v7, v[98:99], v[86:87] offset1:6
	v_pk_mul_f32 v[86:87], v[72:73], 0.5 op_sel_hi:[1,0]
	v_pk_add_f32 v[20:21], v[20:21], v[94:95] neg_lo:[0,1] neg_hi:[0,1]
	v_pk_fma_f32 v[72:73], v[72:73], s[14:15], v[86:87] op_sel:[0,0,1] op_sel_hi:[1,1,0] neg_lo:[0,0,1] neg_hi:[0,0,1]
	v_mov_b32_e32 v86, v24
	v_mov_b32_e32 v87, v89
	v_pk_add_f32 v[94:95], v[86:87], v[72:73]
	ds_write2_b64 v7, v[94:95], v[20:21] offset0:12 offset1:18
	v_sub_f32_e32 v20, v88, v17
	v_sub_f32_e32 v21, v25, v22
	v_pk_add_f32 v[24:25], v[86:87], v[72:73] neg_lo:[0,1] neg_hi:[0,1]
	ds_write2_b64 v7, v[20:21], v[24:25] offset0:24 offset1:30
	s_waitcnt vmcnt(0)
	v_pk_mul_f32 v[20:21], v[82:83], v[56:57] op_sel:[0,1]
	v_mov_b32_e32 v27, v85
	v_mov_b32_e32 v101, v23
	v_pk_fma_f32 v[22:23], v[82:83], v[56:57], v[20:21] op_sel:[0,0,1] op_sel_hi:[1,1,0] neg_lo:[0,0,1] neg_hi:[0,0,1]
	v_pk_fma_f32 v[20:21], v[82:83], v[56:57], v[20:21] op_sel:[0,0,1] op_sel_hi:[1,0,0]
	v_pk_add_f32 v[24:25], v[26:27], v[100:101] neg_lo:[0,1] neg_hi:[0,1]
	v_mov_b32_e32 v23, v21
	v_pk_add_f32 v[20:21], v[26:27], v[100:101]
	v_mov_b32_e32 v91, v93
	v_pk_fma_f32 v[20:21], v[20:21], 0.5, v[18:19] op_sel_hi:[1,0,1] neg_lo:[1,0,0] neg_hi:[1,0,0]
	v_pk_mul_f32 v[24:25], v[24:25], s[14:15] op_sel_hi:[1,0]
	v_mov_b32_e32 v65, v67
	v_pk_add_f32 v[18:19], v[18:19], v[26:27]
	v_pk_add_f32 v[26:27], v[24:25], v[20:21] op_sel:[1,0] op_sel_hi:[0,1]
	v_pk_add_f32 v[20:21], v[20:21], v[24:25] op_sel:[0,1] op_sel_hi:[1,0] neg_lo:[0,1] neg_hi:[0,1]
	v_pk_add_f32 v[24:25], v[90:91], v[22:23]
	v_mad_legacy_u16 v17, v74, 36, v76
	v_pk_fma_f32 v[24:25], v[24:25], 0.5, v[64:65] op_sel_hi:[1,0,1] neg_lo:[1,0,0] neg_hi:[1,0,0]
	v_pk_add_f32 v[64:65], v[64:65], v[90:91]
	v_pk_add_f32 v[18:19], v[18:19], v[100:101]
	;; [unrolled: 1-line block ×3, first 2 shown]
	v_pk_add_f32 v[22:23], v[90:91], v[22:23] neg_lo:[0,1] neg_hi:[0,1]
	v_and_b32_e32 v17, 0xff, v17
	v_pk_fma_f32 v[66:67], v[22:23], s[14:15], v[24:25] op_sel:[0,0,1] op_sel_hi:[1,0,0]
	v_pk_fma_f32 v[22:23], v[22:23], s[14:15], v[24:25] op_sel:[0,0,1] op_sel_hi:[1,0,0] neg_lo:[1,0,0] neg_hi:[1,0,0]
	v_add_lshl_u32 v81, v16, v17, 3
	v_mul_f32_e32 v72, 0x3f5db3d7, v22
	v_fmac_f32_e32 v72, 0.5, v67
	v_mul_f32_e32 v67, 0xbf5db3d7, v67
	v_fmac_f32_e32 v67, 0.5, v22
	v_add_f32_e32 v16, v26, v72
	v_add_f32_e32 v17, v21, v67
	v_pk_add_f32 v[24:25], v[18:19], v[64:65]
	v_mov_b32_e32 v22, v66
	ds_write2_b64 v81, v[24:25], v[16:17] offset1:6
	v_pk_mul_f32 v[16:17], v[22:23], 0.5 op_sel_hi:[1,0]
	v_pk_add_f32 v[18:19], v[18:19], v[64:65] neg_lo:[0,1] neg_hi:[0,1]
	v_pk_fma_f32 v[16:17], v[22:23], s[14:15], v[16:17] op_sel:[0,0,1] op_sel_hi:[1,1,0] neg_lo:[0,0,1] neg_hi:[0,0,1]
	v_mov_b32_e32 v22, v20
	v_mov_b32_e32 v23, v27
	v_pk_add_f32 v[24:25], v[22:23], v[16:17]
	ds_write2_b64 v81, v[24:25], v[18:19] offset0:12 offset1:18
	v_sub_f32_e32 v18, v26, v72
	v_sub_f32_e32 v19, v21, v67
	v_pk_add_f32 v[16:17], v[22:23], v[16:17] neg_lo:[0,1] neg_hi:[0,1]
	v_mad_u64_u32 v[82:83], s[10:11], v28, 24, s[10:11]
	ds_write2_b64 v81, v[18:19], v[16:17] offset0:24 offset1:30
	s_waitcnt lgkmcnt(0)
	s_barrier
	global_load_dwordx4 v[16:19], v[82:83], off offset:240
	global_load_dwordx4 v[20:23], v[82:83], off offset:528
	global_load_dwordx2 v[66:67], v[82:83], off offset:256
	global_load_dwordx2 v[64:65], v[82:83], off offset:544
	global_load_dwordx4 v[24:27], v[82:83], off offset:816
	global_load_dwordx2 v[72:73], v[82:83], off offset:832
	ds_read2_b64 v[82:85], v75 offset0:36 offset1:48
	ds_read2_b64 v[86:89], v75 offset0:108 offset1:120
	s_waitcnt vmcnt(5) lgkmcnt(1)
	v_pk_mul_f32 v[90:91], v[82:83], v[16:17] op_sel:[0,1]
	s_nop 0
	v_pk_fma_f32 v[92:93], v[82:83], v[16:17], v[90:91] op_sel:[0,0,1] op_sel_hi:[1,1,0] neg_lo:[0,0,1] neg_hi:[0,0,1]
	v_pk_fma_f32 v[90:91], v[82:83], v[16:17], v[90:91] op_sel:[0,0,1] op_sel_hi:[1,0,0]
	s_waitcnt vmcnt(4)
	v_pk_mul_f32 v[82:83], v[84:85], v[20:21] op_sel:[0,1]
	v_mov_b32_e32 v78, v19
	v_pk_fma_f32 v[94:95], v[84:85], v[20:21], v[82:83] op_sel:[0,0,1] op_sel_hi:[1,1,0] neg_lo:[0,0,1] neg_hi:[0,0,1]
	v_pk_fma_f32 v[96:97], v[84:85], v[20:21], v[82:83] op_sel:[0,0,1] op_sel_hi:[1,0,0]
	s_waitcnt vmcnt(3) lgkmcnt(0)
	v_pk_mul_f32 v[82:83], v[86:87], v[66:67] op_sel:[0,1]
	v_mov_b32_e32 v76, v23
	v_pk_fma_f32 v[98:99], v[86:87], v[66:67], v[82:83] op_sel:[0,0,1] op_sel_hi:[1,1,0] neg_lo:[0,0,1] neg_hi:[0,0,1]
	v_pk_fma_f32 v[100:101], v[86:87], v[66:67], v[82:83] op_sel:[0,0,1] op_sel_hi:[1,0,0]
	ds_read2_b64 v[82:85], v75 offset0:60 offset1:72
	s_waitcnt vmcnt(2)
	v_pk_mul_f32 v[86:87], v[88:89], v[64:65] op_sel:[0,1]
	s_waitcnt vmcnt(1)
	v_mov_b32_e32 v74, v27
	v_pk_fma_f32 v[102:103], v[88:89], v[64:65], v[86:87] op_sel:[0,0,1] op_sel_hi:[1,1,0] neg_lo:[0,0,1] neg_hi:[0,0,1]
	v_pk_fma_f32 v[88:89], v[88:89], v[64:65], v[86:87] op_sel:[0,0,1] op_sel_hi:[1,0,0]
	s_waitcnt lgkmcnt(0)
	v_pk_mul_f32 v[86:87], v[84:85], v[78:79] op_sel_hi:[1,0]
	v_pk_mul_f32 v[108:109], v[82:83], v[24:25] op_sel:[0,1]
	v_pk_fma_f32 v[104:105], v[84:85], v[18:19], v[86:87] op_sel:[0,0,1] op_sel_hi:[1,1,0] neg_lo:[0,0,1] neg_hi:[0,0,1]
	v_pk_fma_f32 v[106:107], v[84:85], v[18:19], v[86:87] op_sel:[0,0,1] op_sel_hi:[1,0,0]
	ds_read2_b64 v[84:87], v75 offset0:84 offset1:96
	v_pk_fma_f32 v[110:111], v[82:83], v[24:25], v[108:109] op_sel:[0,0,1] op_sel_hi:[1,1,0] neg_lo:[0,0,1] neg_hi:[0,0,1]
	v_pk_fma_f32 v[108:109], v[82:83], v[24:25], v[108:109] op_sel:[0,0,1] op_sel_hi:[1,0,0]
	v_mov_b32_e32 v93, v91
	v_mov_b32_e32 v105, v107
	s_waitcnt lgkmcnt(0)
	v_pk_mul_f32 v[82:83], v[84:85], v[76:77] op_sel_hi:[1,0]
	v_mov_b32_e32 v99, v101
	v_pk_fma_f32 v[112:113], v[84:85], v[22:23], v[82:83] op_sel:[0,0,1] op_sel_hi:[1,1,0] neg_lo:[0,0,1] neg_hi:[0,0,1]
	v_pk_fma_f32 v[82:83], v[84:85], v[22:23], v[82:83] op_sel:[0,0,1] op_sel_hi:[1,0,0]
	v_pk_mul_f32 v[84:85], v[86:87], v[74:75] op_sel_hi:[1,0]
	v_mov_b32_e32 v95, v97
	v_pk_fma_f32 v[114:115], v[86:87], v[26:27], v[84:85] op_sel:[0,0,1] op_sel_hi:[1,1,0] neg_lo:[0,0,1] neg_hi:[0,0,1]
	v_pk_fma_f32 v[86:87], v[86:87], v[26:27], v[84:85] op_sel:[0,0,1] op_sel_hi:[1,0,0]
	ds_read_b64 v[84:85], v77
	v_mov_b32_e32 v103, v89
	ds_read_b64 v[88:89], v75 offset:1056
	v_pk_add_f32 v[96:97], v[92:93], v[98:99] neg_lo:[0,1] neg_hi:[0,1]
	v_mov_b32_e32 v113, v83
	s_waitcnt lgkmcnt(1)
	v_pk_add_f32 v[90:91], v[84:85], v[104:105] neg_lo:[0,1] neg_hi:[0,1]
	v_mov_b32_e32 v115, v87
	v_pk_fma_f32 v[82:83], v[84:85], 2.0, v[90:91] op_sel_hi:[1,0,1] neg_lo:[0,0,1] neg_hi:[0,0,1]
	v_pk_fma_f32 v[84:85], v[92:93], 2.0, v[96:97] op_sel_hi:[1,0,1] neg_lo:[0,0,1] neg_hi:[0,0,1]
	s_waitcnt vmcnt(0) lgkmcnt(0)
	v_pk_mul_f32 v[86:87], v[88:89], v[72:73] op_sel:[0,1]
	v_pk_add_f32 v[92:93], v[82:83], v[84:85] neg_lo:[0,1] neg_hi:[0,1]
	v_mov_b32_e32 v111, v109
	v_pk_fma_f32 v[98:99], v[82:83], 2.0, v[92:93] op_sel_hi:[1,0,1] neg_lo:[0,0,1] neg_hi:[0,0,1]
	ds_read2_b64 v[82:85], v75 offset0:12 offset1:24
	ds_write_b64 v77, v[98:99]
	v_pk_add_f32 v[98:99], v[90:91], v[96:97] op_sel:[0,1] op_sel_hi:[1,0] neg_lo:[0,1] neg_hi:[0,1]
	v_pk_add_f32 v[96:97], v[90:91], v[96:97] op_sel:[0,1] op_sel_hi:[1,0]
	ds_write_b64 v75, v[92:93] offset:576
	v_mov_b32_e32 v99, v97
	s_waitcnt lgkmcnt(2)
	v_pk_add_f32 v[92:93], v[82:83], v[112:113] neg_lo:[0,1] neg_hi:[0,1]
	v_pk_add_f32 v[96:97], v[94:95], v[102:103] neg_lo:[0,1] neg_hi:[0,1]
	v_pk_fma_f32 v[90:91], v[90:91], 2.0, v[98:99] op_sel_hi:[1,0,1] neg_lo:[0,0,1] neg_hi:[0,0,1]
	ds_write_b64 v75, v[98:99] offset:864
	v_pk_add_f32 v[98:99], v[92:93], v[96:97] op_sel:[0,1] op_sel_hi:[1,0] neg_lo:[0,1] neg_hi:[0,1]
	v_pk_add_f32 v[100:101], v[92:93], v[96:97] op_sel:[0,1] op_sel_hi:[1,0]
	v_pk_fma_f32 v[82:83], v[82:83], 2.0, v[92:93] op_sel_hi:[1,0,1] neg_lo:[0,0,1] neg_hi:[0,0,1]
	v_mov_b32_e32 v99, v101
	v_pk_fma_f32 v[100:101], v[92:93], 2.0, v[98:99] op_sel_hi:[1,0,1] neg_lo:[0,0,1] neg_hi:[0,0,1]
	ds_write2_b64 v75, v[90:91], v[100:101] offset0:36 offset1:48
	v_pk_fma_f32 v[90:91], v[94:95], 2.0, v[96:97] op_sel_hi:[1,0,1] neg_lo:[0,0,1] neg_hi:[0,0,1]
	v_pk_fma_f32 v[94:95], v[88:89], v[72:73], v[86:87] op_sel:[0,0,1] op_sel_hi:[1,1,0] neg_lo:[0,0,1] neg_hi:[0,0,1]
	v_pk_fma_f32 v[86:87], v[88:89], v[72:73], v[86:87] op_sel:[0,0,1] op_sel_hi:[1,0,0]
	v_pk_add_f32 v[88:89], v[82:83], v[90:91] neg_lo:[0,1] neg_hi:[0,1]
	v_mov_b32_e32 v95, v87
	v_pk_add_f32 v[86:87], v[84:85], v[114:115] neg_lo:[0,1] neg_hi:[0,1]
	v_pk_add_f32 v[90:91], v[110:111], v[94:95] neg_lo:[0,1] neg_hi:[0,1]
	v_pk_fma_f32 v[84:85], v[84:85], 2.0, v[86:87] op_sel_hi:[1,0,1] neg_lo:[0,0,1] neg_hi:[0,0,1]
	v_pk_fma_f32 v[92:93], v[110:111], 2.0, v[90:91] op_sel_hi:[1,0,1] neg_lo:[0,0,1] neg_hi:[0,0,1]
	;; [unrolled: 1-line block ×3, first 2 shown]
	v_pk_add_f32 v[92:93], v[84:85], v[92:93] neg_lo:[0,1] neg_hi:[0,1]
	ds_write_b64 v75, v[98:99] offset:960
	v_pk_fma_f32 v[84:85], v[84:85], 2.0, v[92:93] op_sel_hi:[1,0,1] neg_lo:[0,0,1] neg_hi:[0,0,1]
	ds_write2_b64 v75, v[82:83], v[84:85] offset0:12 offset1:24
	ds_write2_b64 v75, v[88:89], v[92:93] offset0:84 offset1:96
	v_pk_add_f32 v[82:83], v[86:87], v[90:91] op_sel:[0,1] op_sel_hi:[1,0] neg_lo:[0,1] neg_hi:[0,1]
	v_pk_add_f32 v[84:85], v[86:87], v[90:91] op_sel:[0,1] op_sel_hi:[1,0]
	s_nop 0
	v_mov_b32_e32 v83, v85
	v_pk_fma_f32 v[84:85], v[86:87], 2.0, v[82:83] op_sel_hi:[1,0,1] neg_lo:[0,0,1] neg_hi:[0,0,1]
	ds_write_b64 v75, v[84:85] offset:480
	ds_write_b64 v75, v[82:83] offset:1056
	s_waitcnt lgkmcnt(0)
	s_barrier
	global_load_dwordx2 v[82:83], v79, s[8:9] offset:1152
	global_load_dwordx2 v[86:87], v79, s[16:17] offset:192
	;; [unrolled: 1-line block ×12, first 2 shown]
	ds_read_b64 v[84:85], v77
	s_mov_b32 s8, -0.5
	s_mov_b32 s9, s14
	s_waitcnt vmcnt(11) lgkmcnt(0)
	v_mul_f32_e32 v79, v85, v83
	v_mul_f32_e32 v109, v84, v83
	v_fma_f32 v108, v84, v82, -v79
	v_fmac_f32_e32 v109, v85, v82
	ds_write_b64 v77, v[108:109]
	ds_read2_b64 v[82:85], v75 offset0:12 offset1:24
	s_waitcnt vmcnt(10) lgkmcnt(0)
	v_mul_f32_e32 v79, v85, v87
	v_mul_f32_e32 v109, v84, v87
	v_fma_f32 v108, v84, v86, -v79
	v_fmac_f32_e32 v109, v85, v86
	ds_read2_b64 v[84:87], v75 offset0:36 offset1:48
	s_waitcnt vmcnt(8)
	v_mul_f32_e32 v79, v83, v89
	v_fma_f32 v110, v82, v88, -v79
	v_mul_f32_e32 v111, v82, v89
	v_fmac_f32_e32 v111, v83, v88
	s_waitcnt vmcnt(7) lgkmcnt(0)
	v_mul_f32_e32 v79, v87, v93
	v_mul_f32_e32 v113, v86, v93
	v_fma_f32 v112, v86, v92, -v79
	v_fmac_f32_e32 v113, v87, v92
	ds_read2_b64 v[86:89], v75 offset0:60 offset1:72
	v_mul_f32_e32 v79, v85, v91
	v_mul_f32_e32 v93, v84, v91
	v_fma_f32 v92, v84, v90, -v79
	v_fmac_f32_e32 v93, v85, v90
	ds_read2_b64 v[82:85], v75 offset0:84 offset1:96
	s_waitcnt vmcnt(6) lgkmcnt(1)
	v_mul_f32_e32 v79, v89, v95
	v_fma_f32 v90, v88, v94, -v79
	v_mul_f32_e32 v91, v88, v95
	s_waitcnt vmcnt(4)
	v_mul_f32_e32 v79, v87, v99
	v_fmac_f32_e32 v91, v89, v94
	v_fma_f32 v88, v86, v98, -v79
	v_mul_f32_e32 v89, v86, v99
	s_waitcnt vmcnt(3) lgkmcnt(0)
	v_mul_f32_e32 v79, v85, v101
	v_mul_f32_e32 v95, v84, v101
	v_fmac_f32_e32 v89, v87, v98
	v_fma_f32 v94, v84, v100, -v79
	v_fmac_f32_e32 v95, v85, v100
	ds_read2_b64 v[84:87], v75 offset0:108 offset1:120
	v_mul_f32_e32 v79, v83, v97
	v_mul_f32_e32 v99, v82, v97
	v_fma_f32 v98, v82, v96, -v79
	v_fmac_f32_e32 v99, v83, v96
	s_waitcnt vmcnt(2) lgkmcnt(0)
	v_mul_f32_e32 v79, v87, v103
	v_mul_f32_e32 v83, v86, v103
	v_fma_f32 v82, v86, v102, -v79
	v_fmac_f32_e32 v83, v87, v102
	s_waitcnt vmcnt(0)
	v_mul_f32_e32 v79, v85, v107
	v_mul_f32_e32 v87, v84, v107
	v_fma_f32 v86, v84, v106, -v79
	v_fmac_f32_e32 v87, v85, v106
	ds_read_b64 v[84:85], v75 offset:1056
	ds_write2_b64 v75, v[110:111], v[108:109] offset0:12 offset1:24
	ds_write2_b64 v75, v[92:93], v[112:113] offset0:36 offset1:48
	ds_write2_b64 v75, v[88:89], v[90:91] offset0:60 offset1:72
	ds_write2_b64 v75, v[98:99], v[94:95] offset0:84 offset1:96
	ds_write2_b64 v75, v[86:87], v[82:83] offset0:108 offset1:120
	s_waitcnt lgkmcnt(5)
	v_mul_f32_e32 v79, v85, v105
	v_mul_f32_e32 v83, v84, v105
	v_fma_f32 v82, v84, v104, -v79
	v_fmac_f32_e32 v83, v85, v104
	ds_write_b64 v75, v[82:83] offset:1056
	s_waitcnt lgkmcnt(0)
	s_barrier
	ds_read2_b64 v[82:85], v75 offset0:36 offset1:48
	ds_read2_b64 v[86:89], v75 offset0:84 offset1:96
	ds_read_b64 v[102:103], v77
	ds_read_b64 v[104:105], v75 offset:1056
	s_waitcnt lgkmcnt(2)
	v_pk_add_f32 v[90:91], v[84:85], v[88:89]
	s_waitcnt lgkmcnt(1)
	v_pk_fma_f32 v[106:107], v[90:91], 0.5, v[102:103] op_sel_hi:[1,0,1] neg_lo:[1,0,0] neg_hi:[1,0,0]
	ds_read2_b64 v[90:93], v75 offset0:60 offset1:72
	ds_read2_b64 v[94:97], v75 offset0:108 offset1:120
	;; [unrolled: 1-line block ×3, first 2 shown]
	v_pk_add_f32 v[108:109], v[84:85], v[88:89] neg_lo:[0,1] neg_hi:[0,1]
	v_pk_add_f32 v[84:85], v[102:103], v[84:85]
	v_pk_mul_f32 v[108:109], v[108:109], s[14:15] op_sel_hi:[1,0]
	s_waitcnt lgkmcnt(1)
	v_pk_add_f32 v[114:115], v[92:93], v[96:97] neg_lo:[0,1] neg_hi:[0,1]
	v_pk_add_f32 v[110:111], v[106:107], v[108:109] op_sel:[0,1] op_sel_hi:[1,0] neg_lo:[0,1] neg_hi:[0,1]
	v_pk_add_f32 v[106:107], v[106:107], v[108:109] op_sel:[0,1] op_sel_hi:[1,0]
	v_pk_add_f32 v[108:109], v[92:93], v[96:97]
	v_pk_add_f32 v[84:85], v[84:85], v[88:89]
	s_waitcnt lgkmcnt(0)
	v_fma_f32 v112, -0.5, v109, v101
	v_fma_f32 v108, -0.5, v108, v100
	v_fmamk_f32 v116, v114, 0x3f5db3d7, v112
	v_pk_mul_f32 v[116:117], v[116:117], s[2:3] op_sel_hi:[0,1]
	v_fmamk_f32 v118, v115, 0xbf5db3d7, v108
	v_pk_fma_f32 v[120:121], v[118:119], s[12:13], v[116:117] neg_lo:[0,0,1] neg_hi:[0,0,1]
	v_pk_fma_f32 v[116:117], v[118:119], s[12:13], v[116:117] op_sel_hi:[0,1,1]
	v_pk_add_f32 v[88:89], v[100:101], v[92:93]
	v_fmac_f32_e32 v112, 0xbf5db3d7, v114
	v_mov_b32_e32 v121, v117
	v_pk_add_f32 v[88:89], v[88:89], v[96:97]
	v_mov_b32_e32 v92, v110
	v_mov_b32_e32 v93, v107
	v_fmac_f32_e32 v108, 0x3f5db3d7, v115
	v_pk_mul_f32 v[96:97], v[112:113], s[2:3] op_sel_hi:[0,1]
	v_pk_add_f32 v[100:101], v[84:85], v[88:89]
	v_pk_add_f32 v[102:103], v[92:93], v[120:121]
	v_pk_fma_f32 v[96:97], v[108:109], s[8:9], v[96:97] op_sel_hi:[0,1,1] neg_lo:[0,0,1] neg_hi:[0,0,1]
	v_mov_b32_e32 v107, v111
	s_barrier
	ds_write_b128 v80, v[100:103]
	v_pk_add_f32 v[102:103], v[84:85], v[88:89] neg_lo:[0,1] neg_hi:[0,1]
	v_pk_add_f32 v[100:101], v[106:107], v[96:97]
	v_pk_add_f32 v[84:85], v[98:99], v[90:91]
	;; [unrolled: 1-line block ×3, first 2 shown]
	ds_write_b128 v80, v[100:103] offset:16
	v_pk_add_f32 v[100:101], v[92:93], v[120:121] neg_lo:[0,1] neg_hi:[0,1]
	v_pk_add_f32 v[102:103], v[106:107], v[96:97] neg_lo:[0,1] neg_hi:[0,1]
	v_pk_add_f32 v[92:93], v[84:85], v[94:95]
	v_pk_fma_f32 v[84:85], v[88:89], 0.5, v[98:99] op_sel_hi:[1,0,1] neg_lo:[1,0,0] neg_hi:[1,0,0]
	v_pk_add_f32 v[88:89], v[86:87], v[104:105]
	ds_write_b128 v80, v[100:103] offset:32
	v_pk_add_f32 v[90:91], v[90:91], v[94:95] neg_lo:[0,1] neg_hi:[0,1]
	v_fma_f32 v80, -0.5, v88, v82
	v_fma_f32 v88, -0.5, v89, v83
	v_pk_add_f32 v[82:83], v[82:83], v[86:87]
	v_pk_add_f32 v[86:87], v[86:87], v[104:105] neg_lo:[0,1] neg_hi:[0,1]
	v_pk_add_f32 v[94:95], v[82:83], v[104:105]
	v_pk_mul_f32 v[82:83], v[90:91], s[14:15] op_sel_hi:[1,0]
	s_nop 0
	v_pk_add_f32 v[90:91], v[84:85], v[82:83] op_sel:[0,1] op_sel_hi:[1,0] neg_lo:[0,1] neg_hi:[0,1]
	v_pk_add_f32 v[96:97], v[84:85], v[82:83] op_sel:[0,1] op_sel_hi:[1,0]
	v_fmamk_f32 v82, v86, 0x3f5db3d7, v88
	v_pk_mul_f32 v[82:83], v[82:83], s[2:3] op_sel_hi:[0,1]
	v_fmamk_f32 v84, v87, 0xbf5db3d7, v80
	v_pk_fma_f32 v[98:99], v[84:85], s[12:13], v[82:83] neg_lo:[0,0,1] neg_hi:[0,0,1]
	v_pk_fma_f32 v[82:83], v[84:85], s[12:13], v[82:83] op_sel_hi:[0,1,1]
	v_mov_b32_e32 v99, v83
	v_mov_b32_e32 v100, v90
	;; [unrolled: 1-line block ×3, first 2 shown]
	v_pk_add_f32 v[82:83], v[92:93], v[94:95]
	v_pk_add_f32 v[84:85], v[100:101], v[98:99]
	v_fmac_f32_e32 v88, 0xbf5db3d7, v86
	ds_write_b128 v29, v[82:85]
	v_fmac_f32_e32 v80, 0x3f5db3d7, v87
	v_pk_mul_f32 v[82:83], v[88:89], s[2:3] op_sel_hi:[0,1]
	v_pk_fma_f32 v[86:87], v[80:81], s[8:9], v[82:83] op_sel_hi:[0,1,1] neg_lo:[0,0,1] neg_hi:[0,0,1]
	v_mov_b32_e32 v97, v91
	v_pk_add_f32 v[84:85], v[92:93], v[94:95] neg_lo:[0,1] neg_hi:[0,1]
	v_pk_add_f32 v[82:83], v[96:97], v[86:87]
	ds_write_b128 v29, v[82:85] offset:16
	v_pk_add_f32 v[82:83], v[100:101], v[98:99] neg_lo:[0,1] neg_hi:[0,1]
	v_pk_add_f32 v[84:85], v[96:97], v[86:87] neg_lo:[0,1] neg_hi:[0,1]
	ds_write_b128 v29, v[82:85] offset:32
	s_waitcnt lgkmcnt(0)
	s_barrier
	ds_read2_b64 v[82:85], v75 offset0:108 offset1:120
	ds_read2_b64 v[86:89], v75 offset0:84 offset1:96
	s_waitcnt lgkmcnt(1)
	v_pk_mul_f32 v[90:91], v[62:63], v[84:85] op_sel:[1,0]
	s_nop 0
	v_pk_fma_f32 v[92:93], v[62:63], v[84:85], v[90:91] op_sel:[0,0,1] op_sel_hi:[1,1,0]
	v_pk_fma_f32 v[62:63], v[62:63], v[84:85], v[90:91] op_sel:[0,0,1] op_sel_hi:[0,1,0] neg_lo:[0,0,1] neg_hi:[0,0,1]
	v_pk_mul_f32 v[84:85], v[70:71], v[82:83] op_sel_hi:[0,1]
	v_pk_fma_f32 v[90:91], v[14:15], v[82:83], v[84:85] op_sel:[0,0,1] op_sel_hi:[1,1,0]
	v_pk_fma_f32 v[14:15], v[14:15], v[82:83], v[84:85] op_sel:[0,0,1] op_sel_hi:[0,1,0] neg_lo:[0,0,1] neg_hi:[0,0,1]
	ds_read2_b64 v[82:85], v75 offset0:60 offset1:72
	s_waitcnt lgkmcnt(1)
	v_pk_mul_f32 v[94:95], v[12:13], v[86:87] op_sel:[1,0]
	v_mov_b32_e32 v93, v63
	v_pk_fma_f32 v[96:97], v[12:13], v[86:87], v[94:95] op_sel:[0,0,1] op_sel_hi:[1,1,0]
	v_pk_fma_f32 v[86:87], v[12:13], v[86:87], v[94:95] op_sel:[0,0,1] op_sel_hi:[0,1,0] neg_lo:[0,0,1] neg_hi:[0,0,1]
	v_pk_mul_f32 v[12:13], v[68:69], v[88:89] op_sel_hi:[0,1]
	v_pk_fma_f32 v[94:95], v[10:11], v[88:89], v[12:13] op_sel:[0,0,1] op_sel_hi:[1,1,0]
	v_pk_fma_f32 v[88:89], v[10:11], v[88:89], v[12:13] op_sel:[0,0,1] op_sel_hi:[0,1,0] neg_lo:[0,0,1] neg_hi:[0,0,1]
	s_waitcnt lgkmcnt(0)
	v_pk_mul_f32 v[98:99], v[8:9], v[84:85] op_sel:[1,0]
	ds_read2_b64 v[10:13], v75 offset0:36 offset1:48
	v_pk_fma_f32 v[100:101], v[8:9], v[84:85], v[98:99] op_sel:[0,0,1] op_sel_hi:[1,1,0]
	v_pk_fma_f32 v[8:9], v[8:9], v[84:85], v[98:99] op_sel:[0,0,1] op_sel_hi:[0,1,0] neg_lo:[0,0,1] neg_hi:[0,0,1]
	v_pk_mul_f32 v[84:85], v[60:61], v[82:83] op_sel_hi:[0,1]
	v_pk_fma_f32 v[98:99], v[6:7], v[82:83], v[84:85] op_sel:[0,0,1] op_sel_hi:[1,1,0]
	v_pk_fma_f32 v[102:103], v[6:7], v[82:83], v[84:85] op_sel:[0,0,1] op_sel_hi:[0,1,0] neg_lo:[0,0,1] neg_hi:[0,0,1]
	ds_read2_b64 v[82:85], v75 offset0:12 offset1:24
	s_waitcnt lgkmcnt(1)
	v_pk_mul_f32 v[104:105], v[4:5], v[10:11] op_sel:[1,0]
	ds_read_b64 v[62:63], v77
	v_pk_fma_f32 v[106:107], v[4:5], v[10:11], v[104:105] op_sel:[0,0,1] op_sel_hi:[0,1,0]
	v_pk_fma_f32 v[4:5], v[4:5], v[10:11], v[104:105] op_sel:[0,0,1] op_sel_hi:[0,1,0] neg_lo:[0,0,1] neg_hi:[0,0,1]
	v_pk_mul_f32 v[10:11], v[58:59], v[12:13] op_sel_hi:[0,1]
	v_pk_fma_f32 v[104:105], v[2:3], v[12:13], v[10:11] op_sel:[0,0,1] op_sel_hi:[1,1,0]
	v_pk_fma_f32 v[2:3], v[2:3], v[12:13], v[10:11] op_sel:[0,0,1] op_sel_hi:[0,1,0] neg_lo:[0,0,1] neg_hi:[0,0,1]
	s_waitcnt lgkmcnt(1)
	v_pk_mul_f32 v[10:11], v[0:1], v[84:85] op_sel:[1,0]
	v_mov_b32_e32 v101, v9
	v_pk_fma_f32 v[12:13], v[0:1], v[84:85], v[10:11] op_sel:[0,0,1] op_sel_hi:[0,1,0]
	v_pk_fma_f32 v[0:1], v[0:1], v[84:85], v[10:11] op_sel:[0,0,1] op_sel_hi:[0,1,0] neg_lo:[0,0,1] neg_hi:[0,0,1]
	ds_read_b64 v[84:85], v75 offset:1056
	v_mov_b32_e32 v105, v3
	v_mov_b32_e32 v95, v89
	;; [unrolled: 1-line block ×3, first 2 shown]
	v_pk_add_f32 v[2:3], v[100:101], v[92:93]
	v_pk_add_f32 v[8:9], v[100:101], v[92:93] neg_lo:[0,1] neg_hi:[0,1]
	v_pk_add_f32 v[10:11], v[12:13], v[100:101]
	v_fmac_f32_e32 v12, -0.5, v2
	v_fmac_f32_e32 v1, -0.5, v3
	v_pk_add_f32 v[2:3], v[104:105], v[94:95]
	v_pk_add_f32 v[88:89], v[104:105], v[94:95] neg_lo:[0,1] neg_hi:[0,1]
	s_waitcnt lgkmcnt(1)
	v_pk_fma_f32 v[2:3], v[2:3], 0.5, v[62:63] op_sel_hi:[1,0,1] neg_lo:[1,0,0] neg_hi:[1,0,0]
	v_pk_mul_f32 v[88:89], v[88:89], s[14:15] op_sel_hi:[1,0]
	v_fmamk_f32 v0, v8, 0x3f5db3d7, v1
	v_pk_add_f32 v[10:11], v[10:11], v[92:93]
	v_pk_add_f32 v[62:63], v[62:63], v[104:105]
	v_pk_add_f32 v[92:93], v[2:3], v[88:89] op_sel:[0,1] op_sel_hi:[1,0] neg_lo:[0,1] neg_hi:[0,1]
	v_pk_add_f32 v[2:3], v[2:3], v[88:89] op_sel:[0,1] op_sel_hi:[1,0]
	v_pk_mul_f32 v[88:89], v[0:1], s[2:3] op_sel_hi:[0,1]
	v_fmamk_f32 v0, v9, 0xbf5db3d7, v12
	v_pk_add_f32 v[62:63], v[62:63], v[94:95]
	v_pk_fma_f32 v[94:95], v[0:1], s[12:13], v[88:89] neg_lo:[0,0,1] neg_hi:[0,0,1]
	v_pk_fma_f32 v[88:89], v[0:1], s[12:13], v[88:89] op_sel_hi:[0,1,1]
	v_fmac_f32_e32 v1, 0xbf5db3d7, v8
	v_mov_b32_e32 v0, v1
	v_fmac_f32_e32 v12, 0x3f5db3d7, v9
	v_pk_mul_f32 v[0:1], v[0:1], s[2:3] op_sel_hi:[0,1]
	v_mov_b32_e32 v95, v89
	v_mov_b32_e32 v89, v3
	v_pk_fma_f32 v[0:1], v[12:13], s[8:9], v[0:1] op_sel_hi:[0,1,1] neg_lo:[0,0,1] neg_hi:[0,0,1]
	v_mov_b32_e32 v3, v93
	v_mov_b32_e32 v88, v92
	v_pk_add_f32 v[100:101], v[62:63], v[10:11]
	v_pk_add_f32 v[8:9], v[62:63], v[10:11] neg_lo:[0,1] neg_hi:[0,1]
	v_pk_add_f32 v[10:11], v[2:3], v[0:1]
	s_waitcnt lgkmcnt(0)
	s_barrier
	ds_write2_b64 v7, v[10:11], v[8:9] offset0:12 offset1:18
	v_pk_add_f32 v[8:9], v[88:89], v[94:95] neg_lo:[0,1] neg_hi:[0,1]
	v_pk_add_f32 v[0:1], v[2:3], v[0:1] neg_lo:[0,1] neg_hi:[0,1]
	ds_write2_b64 v7, v[8:9], v[0:1] offset0:24 offset1:30
	v_pk_mul_f32 v[0:1], v[56:57], v[84:85] op_sel:[1,0]
	v_mov_b32_e32 v97, v87
	v_pk_fma_f32 v[2:3], v[56:57], v[84:85], v[0:1] op_sel:[0,0,1] op_sel_hi:[1,1,0]
	v_pk_fma_f32 v[0:1], v[56:57], v[84:85], v[0:1] op_sel:[0,0,1] op_sel_hi:[0,1,0] neg_lo:[0,0,1] neg_hi:[0,0,1]
	v_mov_b32_e32 v3, v1
	v_mov_b32_e32 v99, v103
	;; [unrolled: 1-line block ×4, first 2 shown]
	v_pk_add_f32 v[8:9], v[96:97], v[2:3]
	v_pk_add_f32 v[0:1], v[98:99], v[90:91]
	v_pk_add_f32 v[10:11], v[96:97], v[2:3] neg_lo:[0,1] neg_hi:[0,1]
	v_pk_add_f32 v[12:13], v[106:107], v[96:97]
	v_fmac_f32_e32 v106, -0.5, v8
	v_fmac_f32_e32 v5, -0.5, v9
	v_pk_add_f32 v[8:9], v[98:99], v[90:91] neg_lo:[0,1] neg_hi:[0,1]
	v_pk_fma_f32 v[0:1], v[0:1], 0.5, v[82:83] op_sel_hi:[1,0,1] neg_lo:[1,0,0] neg_hi:[1,0,0]
	v_pk_mul_f32 v[8:9], v[8:9], s[14:15] op_sel_hi:[1,0]
	v_fmamk_f32 v4, v10, 0x3f5db3d7, v5
	v_pk_add_f32 v[2:3], v[12:13], v[2:3]
	v_pk_add_f32 v[12:13], v[0:1], v[8:9] op_sel:[0,1] op_sel_hi:[1,0] neg_lo:[0,1] neg_hi:[0,1]
	v_pk_add_f32 v[0:1], v[0:1], v[8:9] op_sel:[0,1] op_sel_hi:[1,0]
	v_pk_mul_f32 v[8:9], v[4:5], s[2:3] op_sel_hi:[0,1]
	v_fmamk_f32 v4, v11, 0xbf5db3d7, v106
	v_pk_fma_f32 v[14:15], v[4:5], s[12:13], v[8:9] neg_lo:[0,0,1] neg_hi:[0,0,1]
	v_pk_fma_f32 v[8:9], v[4:5], s[12:13], v[8:9] op_sel_hi:[0,1,1]
	v_fmac_f32_e32 v5, 0xbf5db3d7, v10
	v_pk_add_f32 v[104:105], v[88:89], v[94:95]
	v_mov_b32_e32 v4, v5
	ds_write2_b64 v7, v[100:101], v[104:105] offset1:6
	v_pk_add_f32 v[6:7], v[82:83], v[98:99]
	v_fmac_f32_e32 v106, 0x3f5db3d7, v11
	v_pk_mul_f32 v[4:5], v[4:5], s[2:3] op_sel_hi:[0,1]
	v_pk_add_f32 v[6:7], v[6:7], v[90:91]
	v_mov_b32_e32 v15, v9
	v_mov_b32_e32 v9, v1
	v_pk_fma_f32 v[4:5], v[106:107], s[8:9], v[4:5] op_sel_hi:[0,1,1] neg_lo:[0,0,1] neg_hi:[0,0,1]
	v_mov_b32_e32 v1, v13
	v_mov_b32_e32 v8, v12
	v_pk_add_f32 v[56:57], v[6:7], v[2:3]
	v_pk_add_f32 v[2:3], v[6:7], v[2:3] neg_lo:[0,1] neg_hi:[0,1]
	v_pk_add_f32 v[6:7], v[0:1], v[4:5]
	v_pk_add_f32 v[62:63], v[8:9], v[14:15]
	ds_write2_b64 v81, v[6:7], v[2:3] offset0:12 offset1:18
	v_pk_add_f32 v[2:3], v[8:9], v[14:15] neg_lo:[0,1] neg_hi:[0,1]
	v_pk_add_f32 v[0:1], v[0:1], v[4:5] neg_lo:[0,1] neg_hi:[0,1]
	ds_write2_b64 v81, v[56:57], v[62:63] offset1:6
	ds_write2_b64 v81, v[2:3], v[0:1] offset0:24 offset1:30
	s_waitcnt lgkmcnt(0)
	s_barrier
	ds_read2_b64 v[0:3], v75 offset0:36 offset1:48
	ds_read2_b64 v[4:7], v75 offset0:60 offset1:72
	s_waitcnt lgkmcnt(1)
	v_pk_mul_f32 v[8:9], v[16:17], v[0:1] op_sel:[1,0]
	s_nop 0
	v_pk_fma_f32 v[12:13], v[16:17], v[0:1], v[8:9] op_sel:[0,0,1] op_sel_hi:[1,1,0]
	v_pk_fma_f32 v[14:15], v[16:17], v[0:1], v[8:9] op_sel:[0,0,1] op_sel_hi:[0,1,0] neg_lo:[0,0,1] neg_hi:[0,0,1]
	ds_read2_b64 v[8:11], v75 offset0:84 offset1:96
	s_waitcnt lgkmcnt(1)
	v_pk_mul_f32 v[0:1], v[78:79], v[6:7] op_sel_hi:[0,1]
	v_pk_fma_f32 v[16:17], v[18:19], v[6:7], v[0:1] op_sel:[0,0,1] op_sel_hi:[1,1,0]
	v_pk_fma_f32 v[6:7], v[18:19], v[6:7], v[0:1] op_sel:[0,0,1] op_sel_hi:[0,1,0] neg_lo:[0,0,1] neg_hi:[0,0,1]
	v_pk_mul_f32 v[0:1], v[20:21], v[2:3] op_sel:[1,0]
	v_mov_b32_e32 v13, v15
	v_pk_fma_f32 v[18:19], v[20:21], v[2:3], v[0:1] op_sel:[0,0,1] op_sel_hi:[1,1,0]
	v_pk_fma_f32 v[20:21], v[20:21], v[2:3], v[0:1] op_sel:[0,0,1] op_sel_hi:[0,1,0] neg_lo:[0,0,1] neg_hi:[0,0,1]
	s_waitcnt lgkmcnt(0)
	v_pk_mul_f32 v[0:1], v[76:77], v[8:9] op_sel_hi:[0,1]
	v_pk_fma_f32 v[56:57], v[22:23], v[8:9], v[0:1] op_sel:[0,0,1] op_sel_hi:[1,1,0]
	v_pk_fma_f32 v[8:9], v[22:23], v[8:9], v[0:1] op_sel:[0,0,1] op_sel_hi:[0,1,0] neg_lo:[0,0,1] neg_hi:[0,0,1]
	ds_read2_b64 v[0:3], v75 offset0:108 offset1:120
	v_mov_b32_e32 v17, v7
	ds_read_b64 v[6:7], v77
	ds_read_b64 v[14:15], v75 offset:1056
	v_pk_mul_f32 v[22:23], v[24:25], v[4:5] op_sel:[1,0]
	v_mov_b32_e32 v19, v21
	v_pk_fma_f32 v[62:63], v[24:25], v[4:5], v[22:23] op_sel:[0,0,1] op_sel_hi:[1,1,0]
	v_pk_fma_f32 v[4:5], v[24:25], v[4:5], v[22:23] op_sel:[0,0,1] op_sel_hi:[0,1,0] neg_lo:[0,0,1] neg_hi:[0,0,1]
	v_pk_mul_f32 v[22:23], v[74:75], v[10:11] op_sel_hi:[0,1]
	v_pk_fma_f32 v[24:25], v[26:27], v[10:11], v[22:23] op_sel:[0,0,1] op_sel_hi:[1,1,0]
	v_pk_fma_f32 v[10:11], v[26:27], v[10:11], v[22:23] op_sel:[0,0,1] op_sel_hi:[0,1,0] neg_lo:[0,0,1] neg_hi:[0,0,1]
	s_waitcnt lgkmcnt(2)
	v_pk_mul_f32 v[22:23], v[66:67], v[0:1] op_sel:[1,0]
	s_waitcnt lgkmcnt(1)
	v_pk_add_f32 v[16:17], v[6:7], v[16:17] neg_lo:[0,1] neg_hi:[0,1]
	v_pk_fma_f32 v[26:27], v[66:67], v[0:1], v[22:23] op_sel:[0,0,1] op_sel_hi:[1,1,0]
	v_pk_fma_f32 v[22:23], v[66:67], v[0:1], v[22:23] op_sel:[0,0,1] op_sel_hi:[0,1,0] neg_lo:[0,0,1] neg_hi:[0,0,1]
	v_mov_b32_e32 v63, v5
	s_waitcnt lgkmcnt(0)
	v_pk_mul_f32 v[4:5], v[72:73], v[14:15] op_sel:[1,0]
	v_mov_b32_e32 v27, v23
	v_pk_fma_f32 v[20:21], v[6:7], 2.0, v[16:17] op_sel_hi:[1,0,1] neg_lo:[0,0,1] neg_hi:[0,0,1]
	v_mov_b32_e32 v25, v11
	v_pk_fma_f32 v[10:11], v[72:73], v[14:15], v[4:5] op_sel:[0,0,1] op_sel_hi:[1,1,0]
	v_pk_fma_f32 v[14:15], v[72:73], v[14:15], v[4:5] op_sel:[0,0,1] op_sel_hi:[0,1,0] neg_lo:[0,0,1] neg_hi:[0,0,1]
	ds_read2_b64 v[4:7], v75 offset0:12 offset1:24
	v_pk_add_f32 v[22:23], v[12:13], v[26:27] neg_lo:[0,1] neg_hi:[0,1]
	v_pk_mul_f32 v[0:1], v[64:65], v[2:3] op_sel:[1,0]
	v_pk_fma_f32 v[12:13], v[12:13], 2.0, v[22:23] op_sel_hi:[1,0,1] neg_lo:[0,0,1] neg_hi:[0,0,1]
	v_pk_fma_f32 v[66:67], v[64:65], v[2:3], v[0:1] op_sel:[0,0,1] op_sel_hi:[1,1,0]
	v_pk_fma_f32 v[64:65], v[64:65], v[2:3], v[0:1] op_sel:[0,0,1] op_sel_hi:[0,1,0] neg_lo:[0,0,1] neg_hi:[0,0,1]
	v_pk_add_f32 v[12:13], v[20:21], v[12:13] neg_lo:[0,1] neg_hi:[0,1]
	v_mov_b32_e32 v57, v9
	v_mov_b32_e32 v67, v65
	v_pk_fma_f32 v[20:21], v[20:21], 2.0, v[12:13] op_sel_hi:[1,0,1] neg_lo:[0,0,1] neg_hi:[0,0,1]
	v_mov_b32_e32 v11, v15
	s_waitcnt lgkmcnt(0)
	v_pk_add_f32 v[26:27], v[4:5], v[56:57] neg_lo:[0,1] neg_hi:[0,1]
	v_pk_add_f32 v[14:15], v[18:19], v[66:67] neg_lo:[0,1] neg_hi:[0,1]
	;; [unrolled: 1-line block ×4, first 2 shown]
	ds_write_b64 v77, v[20:21]
	v_pk_add_f32 v[20:21], v[16:17], v[22:23] op_sel:[0,1] op_sel_hi:[1,0]
	v_pk_add_f32 v[22:23], v[16:17], v[22:23] op_sel:[0,1] op_sel_hi:[1,0] neg_lo:[0,1] neg_hi:[0,1]
	v_pk_fma_f32 v[4:5], v[4:5], 2.0, v[26:27] op_sel_hi:[1,0,1] neg_lo:[0,0,1] neg_hi:[0,0,1]
	v_pk_fma_f32 v[18:19], v[18:19], 2.0, v[14:15] op_sel_hi:[1,0,1] neg_lo:[0,0,1] neg_hi:[0,0,1]
	;; [unrolled: 1-line block ×4, first 2 shown]
	v_mov_b32_e32 v21, v23
	ds_write_b64 v75, v[12:13] offset:576
	ds_write_b64 v75, v[20:21] offset:864
	v_pk_add_f32 v[12:13], v[26:27], v[14:15] op_sel:[0,1] op_sel_hi:[1,0]
	v_pk_add_f32 v[14:15], v[26:27], v[14:15] op_sel:[0,1] op_sel_hi:[1,0] neg_lo:[0,1] neg_hi:[0,1]
	v_pk_add_f32 v[18:19], v[4:5], v[18:19] neg_lo:[0,1] neg_hi:[0,1]
	v_pk_add_f32 v[56:57], v[6:7], v[56:57] neg_lo:[0,1] neg_hi:[0,1]
	v_mov_b32_e32 v13, v15
	v_pk_fma_f32 v[4:5], v[4:5], 2.0, v[18:19] op_sel_hi:[1,0,1] neg_lo:[0,0,1] neg_hi:[0,0,1]
	v_pk_fma_f32 v[6:7], v[6:7], 2.0, v[56:57] op_sel_hi:[1,0,1] neg_lo:[0,0,1] neg_hi:[0,0,1]
	;; [unrolled: 1-line block ×4, first 2 shown]
	ds_write2_b64 v75, v[16:17], v[14:15] offset0:36 offset1:48
	ds_write_b64 v75, v[12:13] offset:960
	ds_write2_b64 v75, v[4:5], v[6:7] offset0:12 offset1:24
	v_pk_add_f32 v[4:5], v[24:25], v[10:11] op_sel:[0,1] op_sel_hi:[1,0]
	v_pk_add_f32 v[6:7], v[24:25], v[10:11] op_sel:[0,1] op_sel_hi:[1,0] neg_lo:[0,1] neg_hi:[0,1]
	v_mov_b32_e32 v0, s0
	v_mov_b32_e32 v5, v7
	v_pk_fma_f32 v[6:7], v[24:25], 2.0, v[4:5] op_sel_hi:[1,0,1] neg_lo:[0,0,1] neg_hi:[0,0,1]
	ds_write_b64 v75, v[6:7] offset:480
	ds_write2_b64 v75, v[18:19], v[56:57] offset0:84 offset1:96
	ds_write_b64 v75, v[4:5] offset:1056
	s_waitcnt lgkmcnt(0)
	s_barrier
	ds_read_b64 v[4:5], v77
	ds_read_b64 v[14:15], v75 offset:1056
	v_mov_b32_e32 v1, s1
	v_mad_u64_u32 v[2:3], s[0:1], s6, v54, 0
	v_mov_b32_e32 v8, v3
	v_mad_u64_u32 v[6:7], s[0:1], s7, v54, v[8:9]
	v_mov_b32_e32 v3, v6
	s_waitcnt lgkmcnt(1)
	v_mul_f32_e32 v6, v31, v5
	v_fmac_f32_e32 v6, v30, v4
	v_mul_f32_e32 v4, v31, v4
	s_mov_b32 s0, 0x1c71c71c
	v_fma_f32 v4, v30, v5, -v4
	s_mov_b32 s1, 0x3f7c71c7
	v_cvt_f64_f32_e32 v[4:5], v4
	v_cvt_f64_f32_e32 v[6:7], v6
	v_mul_f64 v[4:5], v[4:5], s[0:1]
	v_mad_u64_u32 v[10:11], s[2:3], s4, v28, 0
	v_mul_f64 v[6:7], v[6:7], s[0:1]
	v_cvt_f32_f64_e32 v9, v[4:5]
	v_mov_b32_e32 v4, v11
	v_cvt_f32_f64_e32 v8, v[6:7]
	v_mad_u64_u32 v[12:13], s[2:3], s5, v28, v[4:5]
	ds_read2_b64 v[4:7], v75 offset0:12 offset1:24
	v_lshl_add_u64 v[16:17], v[2:3], 3, v[0:1]
	v_mov_b32_e32 v11, v12
	v_lshl_add_u64 v[10:11], v[10:11], 3, v[16:17]
	global_store_dwordx2 v[10:11], v[8:9], off
	s_waitcnt lgkmcnt(0)
	v_mul_f32_e32 v0, v33, v7
	v_fmac_f32_e32 v0, v32, v6
	v_cvt_f64_f32_e32 v[0:1], v0
	v_mul_f64 v[0:1], v[0:1], s[0:1]
	v_cvt_f32_f64_e32 v8, v[0:1]
	v_mul_f32_e32 v0, v33, v6
	v_fma_f32 v0, v32, v7, -v0
	v_cvt_f64_f32_e32 v[0:1], v0
	v_mul_f64 v[0:1], v[0:1], s[0:1]
	v_cvt_f32_f64_e32 v9, v[0:1]
	ds_read2_b64 v[0:3], v75 offset0:36 offset1:48
	v_mad_u64_u32 v[12:13], s[2:3], s4, v55, v[10:11]
	s_mul_i32 s6, s5, 0xc0
	v_add_u32_e32 v13, s6, v13
	s_waitcnt lgkmcnt(0)
	v_mul_f32_e32 v6, v37, v3
	v_fmac_f32_e32 v6, v36, v2
	v_mul_f32_e32 v2, v37, v2
	v_fma_f32 v2, v36, v3, -v2
	v_cvt_f64_f32_e32 v[6:7], v6
	v_cvt_f64_f32_e32 v[2:3], v2
	v_mul_f64 v[6:7], v[6:7], s[0:1]
	v_mul_f64 v[2:3], v[2:3], s[0:1]
	global_store_dwordx2 v[12:13], v[8:9], off
	v_cvt_f32_f64_e32 v10, v[6:7]
	v_cvt_f32_f64_e32 v11, v[2:3]
	v_mad_u64_u32 v[2:3], s[2:3], s4, v69, 0
	ds_read2_b64 v[6:9], v75 offset0:60 offset1:72
	v_mov_b32_e32 v18, v3
	v_mad_u64_u32 v[18:19], s[2:3], s5, v69, v[18:19]
	v_mov_b32_e32 v3, v18
	v_lshl_add_u64 v[2:3], v[2:3], 3, v[16:17]
	global_store_dwordx2 v[2:3], v[10:11], off
	s_waitcnt lgkmcnt(0)
	v_mul_f32_e32 v2, v35, v9
	v_fmac_f32_e32 v2, v34, v8
	v_cvt_f64_f32_e32 v[2:3], v2
	v_mul_f64 v[2:3], v[2:3], s[0:1]
	v_cvt_f32_f64_e32 v2, v[2:3]
	v_mul_f32_e32 v3, v35, v8
	v_fma_f32 v3, v34, v9, -v3
	v_cvt_f64_f32_e32 v[8:9], v3
	v_mul_f64 v[8:9], v[8:9], s[0:1]
	v_cvt_f32_f64_e32 v3, v[8:9]
	ds_read2_b64 v[8:11], v75 offset0:84 offset1:96
	v_mad_u64_u32 v[18:19], s[2:3], s4, v59, v[12:13]
	s_mul_i32 s7, s5, 0x180
	v_add_u32_e32 v19, s7, v19
	global_store_dwordx2 v[18:19], v[2:3], off
	s_waitcnt lgkmcnt(0)
	v_mul_f32_e32 v2, v39, v11
	v_fmac_f32_e32 v2, v38, v10
	v_cvt_f64_f32_e32 v[2:3], v2
	v_mul_f64 v[2:3], v[2:3], s[0:1]
	v_cvt_f32_f64_e32 v2, v[2:3]
	v_mul_f32_e32 v3, v39, v10
	v_fma_f32 v3, v38, v11, -v3
	v_cvt_f64_f32_e32 v[10:11], v3
	v_mul_f64 v[10:11], v[10:11], s[0:1]
	v_cvt_f32_f64_e32 v3, v[10:11]
	v_mad_u64_u32 v[20:21], s[2:3], s4, v61, 0
	ds_read2_b64 v[10:13], v75 offset0:108 offset1:120
	v_mov_b32_e32 v22, v21
	v_mad_u64_u32 v[22:23], s[2:3], s5, v61, v[22:23]
	v_mov_b32_e32 v21, v22
	v_lshl_add_u64 v[16:17], v[20:21], 3, v[16:17]
	global_store_dwordx2 v[16:17], v[2:3], off
	s_waitcnt lgkmcnt(0)
	v_mul_f32_e32 v2, v41, v13
	v_fmac_f32_e32 v2, v40, v12
	v_cvt_f64_f32_e32 v[2:3], v2
	v_mul_f64 v[2:3], v[2:3], s[0:1]
	v_cvt_f32_f64_e32 v2, v[2:3]
	v_mul_f32_e32 v3, v41, v12
	v_fma_f32 v3, v40, v13, -v3
	v_cvt_f64_f32_e32 v[12:13], v3
	v_mul_f64 v[12:13], v[12:13], s[0:1]
	v_cvt_f32_f64_e32 v3, v[12:13]
	v_mad_u64_u32 v[12:13], s[2:3], s4, v59, v[18:19]
	v_add_u32_e32 v13, s7, v13
	global_store_dwordx2 v[12:13], v[2:3], off
	v_mul_f32_e32 v2, v49, v5
	v_fmac_f32_e32 v2, v48, v4
	v_cvt_f64_f32_e32 v[2:3], v2
	v_mul_f64 v[2:3], v[2:3], s[0:1]
	v_cvt_f32_f64_e32 v2, v[2:3]
	v_mul_f32_e32 v3, v49, v4
	v_fma_f32 v3, v48, v5, -v3
	v_cvt_f64_f32_e32 v[4:5], v3
	v_mul_f64 v[4:5], v[4:5], s[0:1]
	v_cvt_f32_f64_e32 v3, v[4:5]
	v_mad_u64_u32 v[4:5], s[2:3], s4, v71, v[12:13]
	s_mul_i32 s2, s5, 0xfffffca0
	s_sub_i32 s2, s2, s4
	v_add_u32_e32 v5, s2, v5
	global_store_dwordx2 v[4:5], v[2:3], off
	v_mul_f32_e32 v2, v43, v1
	v_fmac_f32_e32 v2, v42, v0
	v_mul_f32_e32 v0, v43, v0
	v_fma_f32 v0, v42, v1, -v0
	v_cvt_f64_f32_e32 v[2:3], v2
	v_cvt_f64_f32_e32 v[0:1], v0
	v_mul_f64 v[2:3], v[2:3], s[0:1]
	v_mul_f64 v[0:1], v[0:1], s[0:1]
	v_cvt_f32_f64_e32 v2, v[2:3]
	v_cvt_f32_f64_e32 v3, v[0:1]
	v_mad_u64_u32 v[0:1], s[2:3], s4, v55, v[4:5]
	v_add_u32_e32 v1, s6, v1
	global_store_dwordx2 v[0:1], v[2:3], off
	v_mul_f32_e32 v2, v51, v7
	v_fmac_f32_e32 v2, v50, v6
	v_cvt_f64_f32_e32 v[2:3], v2
	v_mul_f64 v[2:3], v[2:3], s[0:1]
	v_cvt_f32_f64_e32 v2, v[2:3]
	v_mul_f32_e32 v3, v51, v6
	v_fma_f32 v3, v50, v7, -v3
	v_cvt_f64_f32_e32 v[4:5], v3
	v_mul_f64 v[4:5], v[4:5], s[0:1]
	v_mad_u64_u32 v[0:1], s[2:3], s4, v55, v[0:1]
	v_cvt_f32_f64_e32 v3, v[4:5]
	v_add_u32_e32 v1, s6, v1
	global_store_dwordx2 v[0:1], v[2:3], off
	v_mul_f32_e32 v2, v45, v9
	v_fmac_f32_e32 v2, v44, v8
	v_cvt_f64_f32_e32 v[2:3], v2
	v_mul_f64 v[2:3], v[2:3], s[0:1]
	v_cvt_f32_f64_e32 v2, v[2:3]
	v_mul_f32_e32 v3, v45, v8
	v_fma_f32 v3, v44, v9, -v3
	v_cvt_f64_f32_e32 v[4:5], v3
	v_mul_f64 v[4:5], v[4:5], s[0:1]
	v_mad_u64_u32 v[0:1], s[2:3], s4, v55, v[0:1]
	v_cvt_f32_f64_e32 v3, v[4:5]
	;; [unrolled: 13-line block ×4, first 2 shown]
	v_add_u32_e32 v1, s6, v1
	global_store_dwordx2 v[0:1], v[2:3], off
.LBB0_2:
	s_endpgm
	.section	.rodata,"a",@progbits
	.p2align	6, 0x0
	.amdhsa_kernel bluestein_single_back_len144_dim1_sp_op_CI_CI
		.amdhsa_group_segment_fixed_size 11520
		.amdhsa_private_segment_fixed_size 0
		.amdhsa_kernarg_size 104
		.amdhsa_user_sgpr_count 2
		.amdhsa_user_sgpr_dispatch_ptr 0
		.amdhsa_user_sgpr_queue_ptr 0
		.amdhsa_user_sgpr_kernarg_segment_ptr 1
		.amdhsa_user_sgpr_dispatch_id 0
		.amdhsa_user_sgpr_kernarg_preload_length 0
		.amdhsa_user_sgpr_kernarg_preload_offset 0
		.amdhsa_user_sgpr_private_segment_size 0
		.amdhsa_uses_dynamic_stack 0
		.amdhsa_enable_private_segment 0
		.amdhsa_system_sgpr_workgroup_id_x 1
		.amdhsa_system_sgpr_workgroup_id_y 0
		.amdhsa_system_sgpr_workgroup_id_z 0
		.amdhsa_system_sgpr_workgroup_info 0
		.amdhsa_system_vgpr_workitem_id 0
		.amdhsa_next_free_vgpr 122
		.amdhsa_next_free_sgpr 20
		.amdhsa_accum_offset 124
		.amdhsa_reserve_vcc 1
		.amdhsa_float_round_mode_32 0
		.amdhsa_float_round_mode_16_64 0
		.amdhsa_float_denorm_mode_32 3
		.amdhsa_float_denorm_mode_16_64 3
		.amdhsa_dx10_clamp 1
		.amdhsa_ieee_mode 1
		.amdhsa_fp16_overflow 0
		.amdhsa_tg_split 0
		.amdhsa_exception_fp_ieee_invalid_op 0
		.amdhsa_exception_fp_denorm_src 0
		.amdhsa_exception_fp_ieee_div_zero 0
		.amdhsa_exception_fp_ieee_overflow 0
		.amdhsa_exception_fp_ieee_underflow 0
		.amdhsa_exception_fp_ieee_inexact 0
		.amdhsa_exception_int_div_zero 0
	.end_amdhsa_kernel
	.text
.Lfunc_end0:
	.size	bluestein_single_back_len144_dim1_sp_op_CI_CI, .Lfunc_end0-bluestein_single_back_len144_dim1_sp_op_CI_CI
                                        ; -- End function
	.section	.AMDGPU.csdata,"",@progbits
; Kernel info:
; codeLenInByte = 7280
; NumSgprs: 26
; NumVgprs: 122
; NumAgprs: 0
; TotalNumVgprs: 122
; ScratchSize: 0
; MemoryBound: 0
; FloatMode: 240
; IeeeMode: 1
; LDSByteSize: 11520 bytes/workgroup (compile time only)
; SGPRBlocks: 3
; VGPRBlocks: 15
; NumSGPRsForWavesPerEU: 26
; NumVGPRsForWavesPerEU: 122
; AccumOffset: 124
; Occupancy: 4
; WaveLimiterHint : 1
; COMPUTE_PGM_RSRC2:SCRATCH_EN: 0
; COMPUTE_PGM_RSRC2:USER_SGPR: 2
; COMPUTE_PGM_RSRC2:TRAP_HANDLER: 0
; COMPUTE_PGM_RSRC2:TGID_X_EN: 1
; COMPUTE_PGM_RSRC2:TGID_Y_EN: 0
; COMPUTE_PGM_RSRC2:TGID_Z_EN: 0
; COMPUTE_PGM_RSRC2:TIDIG_COMP_CNT: 0
; COMPUTE_PGM_RSRC3_GFX90A:ACCUM_OFFSET: 30
; COMPUTE_PGM_RSRC3_GFX90A:TG_SPLIT: 0
	.text
	.p2alignl 6, 3212836864
	.fill 256, 4, 3212836864
	.type	__hip_cuid_923c40f98e9b08c6,@object ; @__hip_cuid_923c40f98e9b08c6
	.section	.bss,"aw",@nobits
	.globl	__hip_cuid_923c40f98e9b08c6
__hip_cuid_923c40f98e9b08c6:
	.byte	0                               ; 0x0
	.size	__hip_cuid_923c40f98e9b08c6, 1

	.ident	"AMD clang version 19.0.0git (https://github.com/RadeonOpenCompute/llvm-project roc-6.4.0 25133 c7fe45cf4b819c5991fe208aaa96edf142730f1d)"
	.section	".note.GNU-stack","",@progbits
	.addrsig
	.addrsig_sym __hip_cuid_923c40f98e9b08c6
	.amdgpu_metadata
---
amdhsa.kernels:
  - .agpr_count:     0
    .args:
      - .actual_access:  read_only
        .address_space:  global
        .offset:         0
        .size:           8
        .value_kind:     global_buffer
      - .actual_access:  read_only
        .address_space:  global
        .offset:         8
        .size:           8
        .value_kind:     global_buffer
      - .actual_access:  read_only
        .address_space:  global
        .offset:         16
        .size:           8
        .value_kind:     global_buffer
      - .actual_access:  read_only
        .address_space:  global
        .offset:         24
        .size:           8
        .value_kind:     global_buffer
      - .actual_access:  read_only
        .address_space:  global
        .offset:         32
        .size:           8
        .value_kind:     global_buffer
      - .offset:         40
        .size:           8
        .value_kind:     by_value
      - .address_space:  global
        .offset:         48
        .size:           8
        .value_kind:     global_buffer
      - .address_space:  global
        .offset:         56
        .size:           8
        .value_kind:     global_buffer
      - .address_space:  global
        .offset:         64
        .size:           8
        .value_kind:     global_buffer
      - .address_space:  global
        .offset:         72
        .size:           8
        .value_kind:     global_buffer
      - .offset:         80
        .size:           4
        .value_kind:     by_value
      - .address_space:  global
        .offset:         88
        .size:           8
        .value_kind:     global_buffer
      - .address_space:  global
        .offset:         96
        .size:           8
        .value_kind:     global_buffer
    .group_segment_fixed_size: 11520
    .kernarg_segment_align: 8
    .kernarg_segment_size: 104
    .language:       OpenCL C
    .language_version:
      - 2
      - 0
    .max_flat_workgroup_size: 120
    .name:           bluestein_single_back_len144_dim1_sp_op_CI_CI
    .private_segment_fixed_size: 0
    .sgpr_count:     26
    .sgpr_spill_count: 0
    .symbol:         bluestein_single_back_len144_dim1_sp_op_CI_CI.kd
    .uniform_work_group_size: 1
    .uses_dynamic_stack: false
    .vgpr_count:     122
    .vgpr_spill_count: 0
    .wavefront_size: 64
amdhsa.target:   amdgcn-amd-amdhsa--gfx950
amdhsa.version:
  - 1
  - 2
...

	.end_amdgpu_metadata
